;; amdgpu-corpus repo=FlagOpen/FlagGems kind=triton arch=gfx950 opt=O3 lang=triton
	.amdgcn_target "amdgcn-amd-amdhsa--gfx950"
	.amdhsa_code_object_version 5
	.text
	.globl	dot_kernel_1                    ; -- Begin function dot_kernel_1
	.p2align	8
	.type	dot_kernel_1,@function
dot_kernel_1:                           ; @dot_kernel_1
.Lfunc_begin0:
	.cfi_sections .debug_frame
	.cfi_startproc
; %bb.25:
	.file	1 "/root/src/amdgpu-assembly/repos/FlagOpen__FlagGems/triton_aot_kernels" "dot_aot.py"
	.loc	1 8 0 prologue_end              ; dot_aot.py:8:0
	s_load_dwordx2 s[2:3], s[0:1], 0x0
	s_load_dwordx8 s[4:11], s[0:1], 0x8
	s_load_dwordx2 s[12:13], s[0:1], 0x28
	s_waitcnt lgkmcnt(0)
	s_branch .LBB0_0
	.loc	1 0 0 is_stmt 0                 ; :0:0
.Ltmp0:
	.p2align	8
; %bb.26:
.LBB0_0:
.Ltmp1:
	.loc	1 19 28 is_stmt 1               ; dot_aot.py:19:28
	v_readfirstlane_b32 s12, v0
	.loc	1 10 24                         ; dot_aot.py:10:24
	s_lshl_b32 s0, s14, 10
	.loc	1 12 41                         ; dot_aot.py:12:41
	s_and_b32 s1, s12, 0xc0
	v_and_b32_e32 v1, 63, v0
	.loc	1 12 28 is_stmt 0               ; dot_aot.py:12:28
	s_or_b32 s0, s1, s0
	v_or_b32_e32 v2, s0, v1
	.loc	1 15 24 is_stmt 1               ; dot_aot.py:15:24
	v_ashrrev_i32_e32 v3, 31, v2
	.loc	1 15 16 is_stmt 0               ; dot_aot.py:15:16
	v_mov_b32_e32 v6, 0
	.loc	1 14 21 is_stmt 1               ; dot_aot.py:14:21
	v_cmp_gt_i32_e32 vcc, s8, v2
	.loc	1 15 24                         ; dot_aot.py:15:24
	v_lshl_add_u64 v[4:5], v[2:3], 2, s[2:3]
	v_mov_b32_e32 v7, v6
	.loc	1 15 16 is_stmt 0               ; dot_aot.py:15:16
	s_and_saveexec_b64 s[0:1], vcc
	s_cbranch_execz .LBB0_2
; %bb.1:
	global_load_dword v7, v[4:5], off
.LBB0_2:
	.loc	1 0 16                          ; dot_aot.py:0:16
	s_or_b64 exec, exec, s[0:1]
	.loc	1 12 28 is_stmt 1               ; dot_aot.py:12:28
	v_or_b32_e32 v8, 0x100, v2
	.loc	1 14 21                         ; dot_aot.py:14:21
	v_cmp_gt_i32_e64 s[0:1], s8, v8
	.loc	1 15 16                         ; dot_aot.py:15:16
	s_and_saveexec_b64 s[2:3], s[0:1]
	s_cbranch_execz .LBB0_4
; %bb.3:
	global_load_dword v6, v[4:5], off offset:1024
.LBB0_4:
	.loc	1 0 16 is_stmt 0                ; dot_aot.py:0:16
	s_or_b64 exec, exec, s[2:3]
	.loc	1 12 28 is_stmt 1               ; dot_aot.py:12:28
	v_or_b32_e32 v8, 0x200, v2
	.loc	1 14 21                         ; dot_aot.py:14:21
	v_cmp_gt_i32_e64 s[2:3], s8, v8
	.loc	1 15 16                         ; dot_aot.py:15:16
	v_mov_b32_e32 v8, 0
	v_mov_b32_e32 v9, v8
	s_and_saveexec_b64 s[10:11], s[2:3]
	s_cbranch_execz .LBB0_6
; %bb.5:
	global_load_dword v9, v[4:5], off offset:2048
.LBB0_6:
	.loc	1 0 16 is_stmt 0                ; dot_aot.py:0:16
	s_or_b64 exec, exec, s[10:11]
	.loc	1 12 28 is_stmt 1               ; dot_aot.py:12:28
	v_or_b32_e32 v10, 0x300, v2
	.loc	1 14 21                         ; dot_aot.py:14:21
	v_cmp_gt_i32_e64 s[8:9], s8, v10
	.loc	1 15 16                         ; dot_aot.py:15:16
	s_and_saveexec_b64 s[10:11], s[8:9]
	s_cbranch_execz .LBB0_8
; %bb.7:
	global_load_dword v8, v[4:5], off offset:3072
.LBB0_8:
	.loc	1 0 16 is_stmt 0                ; dot_aot.py:0:16
	s_or_b64 exec, exec, s[10:11]
	.loc	1 16 16 is_stmt 1               ; dot_aot.py:16:16
	v_mov_b32_e32 v4, 0
	.loc	1 16 24 is_stmt 0               ; dot_aot.py:16:24
	v_lshl_add_u64 v[2:3], v[2:3], 2, s[4:5]
	v_mov_b32_e32 v5, v4
	.loc	1 16 16                         ; dot_aot.py:16:16
	s_and_saveexec_b64 s[4:5], vcc
	s_cbranch_execz .LBB0_10
; %bb.9:
	global_load_dword v5, v[2:3], off
.LBB0_10:
	.loc	1 0 16                          ; dot_aot.py:0:16
	s_or_b64 exec, exec, s[4:5]
	.loc	1 16 16                         ; dot_aot.py:16:16
	s_and_saveexec_b64 s[4:5], s[0:1]
	s_cbranch_execz .LBB0_12
; %bb.11:
	global_load_dword v4, v[2:3], off offset:1024
.LBB0_12:
	.loc	1 0 16                          ; dot_aot.py:0:16
	s_or_b64 exec, exec, s[4:5]
	.loc	1 16 16                         ; dot_aot.py:16:16
	v_mov_b32_e32 v10, 0
	v_mov_b32_e32 v11, v10
	s_and_saveexec_b64 s[0:1], s[2:3]
	s_cbranch_execz .LBB0_14
; %bb.13:
	global_load_dword v11, v[2:3], off offset:2048
.LBB0_14:
	.loc	1 0 16                          ; dot_aot.py:0:16
	s_or_b64 exec, exec, s[0:1]
	.loc	1 16 16                         ; dot_aot.py:16:16
	s_and_saveexec_b64 s[0:1], s[8:9]
	s_cbranch_execz .LBB0_16
; %bb.15:
	global_load_dword v10, v[2:3], off offset:3072
.LBB0_16:
	.loc	1 0 16                          ; dot_aot.py:0:16
	s_or_b64 exec, exec, s[0:1]
.Ltmp2:
	.file	2 "/root/.local/lib/python3.13/site-packages/triton/language" "standard.py"
	.loc	2 263 15 is_stmt 1              ; standard.py:263:15 @[ standard.py:293:36 @[ dot_aot.py:18:25 ] ]
	s_waitcnt vmcnt(0)
	v_mul_f32_e32 v2, v7, v5
	v_fmac_f32_e32 v2, v6, v4
	v_fmac_f32_e32 v2, v9, v11
	;; [unrolled: 1-line block ×3, first 2 shown]
.Ltmp3:
	.loc	2 293 36                        ; standard.py:293:36 @[ dot_aot.py:18:25 ]
	v_cmp_eq_u32_e32 vcc, 0, v1
.Ltmp4:
	.loc	2 263 15                        ; standard.py:263:15 @[ standard.py:293:36 @[ dot_aot.py:18:25 ] ]
	s_nop 0
	v_add_f32_dpp v2, v2, v2 row_shr:8 row_mask:0xf bank_mask:0xf bound_ctrl:1
	s_nop 1
	v_add_f32_dpp v2, v2, v2 row_shr:4 row_mask:0xf bank_mask:0xf bound_ctrl:1
	;; [unrolled: 2-line block ×4, first 2 shown]
.Ltmp5:
	.loc	2 293 36                        ; standard.py:293:36 @[ dot_aot.py:18:25 ]
	v_mov_b32_e32 v3, v2
	s_nop 1
	v_mov_b32_dpp v3, v3 row_bcast:15 row_mask:0xa bank_mask:0xf bound_ctrl:1
.Ltmp6:
	.loc	2 263 15                        ; standard.py:263:15 @[ standard.py:293:36 @[ dot_aot.py:18:25 ] ]
	v_add_f32_e32 v2, v3, v2
	s_nop 1
	v_add_f32_dpp v2, v2, v2 row_bcast:31 row_mask:0xf bank_mask:0xf bound_ctrl:1
.Ltmp7:
	.loc	2 293 36                        ; standard.py:293:36 @[ dot_aot.py:18:25 ]
	s_nop 0
	v_readlane_b32 s2, v2, 63
	s_and_saveexec_b64 s[0:1], vcc
	s_cbranch_execz .LBB0_18
; %bb.17:
	.loc	2 0 36 is_stmt 0                ; standard.py:0:36
	s_lshr_b32 s3, s12, 4
	s_and_b32 s3, s3, 12
	s_add_i32 s3, s3, 0
	.loc	2 293 36                        ; standard.py:293:36 @[ dot_aot.py:18:25 ]
	v_mov_b32_e32 v2, s3
	v_mov_b32_e32 v3, s2
	ds_write_b32 v2, v3
.LBB0_18:
	.loc	2 0 36                          ; standard.py:0:36
	s_or_b64 exec, exec, s[0:1]
	.loc	2 293 36                        ; standard.py:293:36 @[ dot_aot.py:18:25 ]
	v_cmp_gt_u32_e32 vcc, 4, v0
	v_lshl_add_u32 v2, v0, 2, 0
.Ltmp8:
	.loc	1 18 25 is_stmt 1               ; dot_aot.py:18:25
	v_mov_b32_e32 v3, 0
.Ltmp9:
	.loc	2 293 36                        ; standard.py:293:36 @[ dot_aot.py:18:25 ]
	s_waitcnt lgkmcnt(0)
	s_barrier
	s_and_saveexec_b64 s[0:1], vcc
; %bb.19:
	ds_read_b32 v3, v2
; %bb.20:
	.loc	2 0 36 is_stmt 0                ; standard.py:0:36
	s_or_b64 exec, exec, s[0:1]
	.loc	2 293 36                        ; standard.py:293:36 @[ dot_aot.py:18:25 ]
	s_waitcnt lgkmcnt(0)
	v_mov_b32_e32 v4, v3
	v_and_b32_e32 v0, 3, v0
	v_cmp_eq_u32_e64 s[0:1], 0, v0
	v_mov_b32_dpp v4, v4 quad_perm:[2,3,0,1] row_mask:0xf bank_mask:0xf
.Ltmp10:
	.loc	2 263 15 is_stmt 1              ; standard.py:263:15 @[ standard.py:293:36 @[ dot_aot.py:18:25 ] ]
	v_add_f32_e32 v3, v3, v4
.Ltmp11:
	.loc	2 293 36                        ; standard.py:293:36 @[ dot_aot.py:18:25 ]
	v_mov_b32_e32 v4, v3
	s_and_b64 s[2:3], vcc, s[0:1]
	s_nop 0
	v_mov_b32_dpp v4, v4 quad_perm:[1,0,3,2] row_mask:0xf bank_mask:0xf
	s_and_saveexec_b64 s[0:1], s[2:3]
; %bb.21:
	.loc	2 0 36 is_stmt 0                ; standard.py:0:36
	v_add_f32_e32 v0, v3, v4
	.loc	2 293 36                        ; standard.py:293:36 @[ dot_aot.py:18:25 ]
	ds_write_b32 v2, v0
.Ltmp12:
; %bb.22:
	.loc	2 0 36                          ; standard.py:0:36
	s_or_b64 exec, exec, s[0:1]
	.loc	1 19 28 is_stmt 1               ; dot_aot.py:19:28
	s_lshr_b32 s0, s12, 6
	v_or_b32_e32 v0, s0, v1
	v_cmp_eq_u32_e32 vcc, 0, v0
.Ltmp13:
	.loc	2 293 36                        ; standard.py:293:36 @[ dot_aot.py:18:25 ]
	s_waitcnt lgkmcnt(0)
	s_barrier
.Ltmp14:
	.loc	1 19 28                         ; dot_aot.py:19:28
	s_and_saveexec_b64 s[0:1], vcc
	s_cbranch_execz .LBB0_24
; %bb.23:
	.loc	1 0 28 is_stmt 0                ; dot_aot.py:0:28
	v_mov_b32_e32 v0, 0
	.loc	1 19 28                         ; dot_aot.py:19:28
	ds_read_b32 v1, v0
	s_ashr_i32 s15, s14, 31
	s_lshl_b64 s[0:1], s[14:15], 2
	s_add_u32 s0, s6, s0
	s_addc_u32 s1, s7, s1
	s_waitcnt lgkmcnt(0)
	global_store_dword v0, v1, s[0:1]
.LBB0_24:
	.loc	1 19 4                          ; dot_aot.py:19:4
	s_endpgm
.Ltmp15:
	.section	.rodata,"a",@progbits
	.p2align	6, 0x0
	.amdhsa_kernel dot_kernel_1
		.amdhsa_group_segment_fixed_size 0
		.amdhsa_private_segment_fixed_size 0
		.amdhsa_kernarg_size 48
		.amdhsa_user_sgpr_count 14
		.amdhsa_user_sgpr_dispatch_ptr 0
		.amdhsa_user_sgpr_queue_ptr 0
		.amdhsa_user_sgpr_kernarg_segment_ptr 1
		.amdhsa_user_sgpr_dispatch_id 0
		.amdhsa_user_sgpr_kernarg_preload_length 12
		.amdhsa_user_sgpr_kernarg_preload_offset 0
		.amdhsa_user_sgpr_private_segment_size 0
		.amdhsa_uses_dynamic_stack 0
		.amdhsa_enable_private_segment 0
		.amdhsa_system_sgpr_workgroup_id_x 1
		.amdhsa_system_sgpr_workgroup_id_y 0
		.amdhsa_system_sgpr_workgroup_id_z 0
		.amdhsa_system_sgpr_workgroup_info 0
		.amdhsa_system_vgpr_workitem_id 0
		.amdhsa_next_free_vgpr 12
		.amdhsa_next_free_sgpr 16
		.amdhsa_accum_offset 12
		.amdhsa_reserve_vcc 1
		.amdhsa_reserve_xnack_mask 1
		.amdhsa_float_round_mode_32 0
		.amdhsa_float_round_mode_16_64 0
		.amdhsa_float_denorm_mode_32 3
		.amdhsa_float_denorm_mode_16_64 3
		.amdhsa_dx10_clamp 1
		.amdhsa_ieee_mode 1
		.amdhsa_fp16_overflow 0
		.amdhsa_tg_split 0
		.amdhsa_exception_fp_ieee_invalid_op 0
		.amdhsa_exception_fp_denorm_src 0
		.amdhsa_exception_fp_ieee_div_zero 0
		.amdhsa_exception_fp_ieee_overflow 0
		.amdhsa_exception_fp_ieee_underflow 0
		.amdhsa_exception_fp_ieee_inexact 0
		.amdhsa_exception_int_div_zero 0
	.end_amdhsa_kernel
	.text
.Lfunc_end0:
	.size	dot_kernel_1, .Lfunc_end0-dot_kernel_1
	.cfi_endproc
                                        ; -- End function
	.set dot_kernel_1.num_vgpr, 12
	.set dot_kernel_1.num_agpr, 0
	.set dot_kernel_1.numbered_sgpr, 16
	.set dot_kernel_1.num_named_barrier, 0
	.set dot_kernel_1.private_seg_size, 0
	.set dot_kernel_1.uses_vcc, 1
	.set dot_kernel_1.uses_flat_scratch, 0
	.set dot_kernel_1.has_dyn_sized_stack, 0
	.set dot_kernel_1.has_recursion, 0
	.set dot_kernel_1.has_indirect_call, 0
	.section	.AMDGPU.csdata,"",@progbits
; Kernel info:
; codeLenInByte = 888
; TotalNumSgprs: 22
; NumVgprs: 12
; NumAgprs: 0
; TotalNumVgprs: 12
; ScratchSize: 0
; MemoryBound: 0
; FloatMode: 240
; IeeeMode: 1
; LDSByteSize: 0 bytes/workgroup (compile time only)
; SGPRBlocks: 2
; VGPRBlocks: 1
; NumSGPRsForWavesPerEU: 22
; NumVGPRsForWavesPerEU: 12
; AccumOffset: 12
; Occupancy: 8
; WaveLimiterHint : 0
; COMPUTE_PGM_RSRC2:SCRATCH_EN: 0
; COMPUTE_PGM_RSRC2:USER_SGPR: 14
; COMPUTE_PGM_RSRC2:TRAP_HANDLER: 0
; COMPUTE_PGM_RSRC2:TGID_X_EN: 1
; COMPUTE_PGM_RSRC2:TGID_Y_EN: 0
; COMPUTE_PGM_RSRC2:TGID_Z_EN: 0
; COMPUTE_PGM_RSRC2:TIDIG_COMP_CNT: 0
; COMPUTE_PGM_RSRC3_GFX90A:ACCUM_OFFSET: 2
; COMPUTE_PGM_RSRC3_GFX90A:TG_SPLIT: 0
	.text
	.p2alignl 6, 3212836864
	.fill 256, 4, 3212836864
	.section	.AMDGPU.gpr_maximums,"",@progbits
	.set amdgpu.max_num_vgpr, 0
	.set amdgpu.max_num_agpr, 0
	.set amdgpu.max_num_sgpr, 0
	.set amdgpu.max_num_named_barrier, 0
	.text
	.section	.debug_abbrev,"",@progbits
	.byte	1                               ; Abbreviation Code
	.byte	17                              ; DW_TAG_compile_unit
	.byte	1                               ; DW_CHILDREN_yes
	.byte	37                              ; DW_AT_producer
	.byte	14                              ; DW_FORM_strp
	.byte	19                              ; DW_AT_language
	.byte	5                               ; DW_FORM_data2
	.byte	3                               ; DW_AT_name
	.byte	14                              ; DW_FORM_strp
	.byte	16                              ; DW_AT_stmt_list
	.byte	23                              ; DW_FORM_sec_offset
	.byte	27                              ; DW_AT_comp_dir
	.byte	14                              ; DW_FORM_strp
	.byte	17                              ; DW_AT_low_pc
	.byte	1                               ; DW_FORM_addr
	.byte	18                              ; DW_AT_high_pc
	.byte	6                               ; DW_FORM_data4
	.byte	0                               ; EOM(1)
	.byte	0                               ; EOM(2)
	.byte	2                               ; Abbreviation Code
	.byte	46                              ; DW_TAG_subprogram
	.byte	0                               ; DW_CHILDREN_no
	.byte	3                               ; DW_AT_name
	.byte	14                              ; DW_FORM_strp
	.byte	32                              ; DW_AT_inline
	.byte	11                              ; DW_FORM_data1
	.byte	0                               ; EOM(1)
	.byte	0                               ; EOM(2)
	.byte	3                               ; Abbreviation Code
	.byte	46                              ; DW_TAG_subprogram
	.byte	1                               ; DW_CHILDREN_yes
	.byte	17                              ; DW_AT_low_pc
	.byte	1                               ; DW_FORM_addr
	.byte	18                              ; DW_AT_high_pc
	.byte	6                               ; DW_FORM_data4
	.byte	49                              ; DW_AT_abstract_origin
	.byte	19                              ; DW_FORM_ref4
	.byte	0                               ; EOM(1)
	.byte	0                               ; EOM(2)
	.byte	4                               ; Abbreviation Code
	.byte	29                              ; DW_TAG_inlined_subroutine
	.byte	1                               ; DW_CHILDREN_yes
	.byte	49                              ; DW_AT_abstract_origin
	.byte	19                              ; DW_FORM_ref4
	.byte	85                              ; DW_AT_ranges
	.byte	23                              ; DW_FORM_sec_offset
	.byte	88                              ; DW_AT_call_file
	.byte	11                              ; DW_FORM_data1
	.byte	89                              ; DW_AT_call_line
	.byte	11                              ; DW_FORM_data1
	.byte	87                              ; DW_AT_call_column
	.byte	11                              ; DW_FORM_data1
	.byte	0                               ; EOM(1)
	.byte	0                               ; EOM(2)
	.byte	5                               ; Abbreviation Code
	.byte	29                              ; DW_TAG_inlined_subroutine
	.byte	0                               ; DW_CHILDREN_no
	.byte	49                              ; DW_AT_abstract_origin
	.byte	19                              ; DW_FORM_ref4
	.byte	85                              ; DW_AT_ranges
	.byte	23                              ; DW_FORM_sec_offset
	.byte	88                              ; DW_AT_call_file
	.byte	11                              ; DW_FORM_data1
	.byte	89                              ; DW_AT_call_line
	.byte	5                               ; DW_FORM_data2
	.byte	87                              ; DW_AT_call_column
	.byte	11                              ; DW_FORM_data1
	.byte	0                               ; EOM(1)
	.byte	0                               ; EOM(2)
	.byte	0                               ; EOM(3)
	.section	.debug_info,"",@progbits
.Lcu_begin0:
	.long	.Ldebug_info_end0-.Ldebug_info_start0 ; Length of Unit
.Ldebug_info_start0:
	.short	4                               ; DWARF version number
	.long	.debug_abbrev                   ; Offset Into Abbrev. Section
	.byte	8                               ; Address Size (in bytes)
	.byte	1                               ; Abbrev [1] 0xb:0x52 DW_TAG_compile_unit
	.long	.Linfo_string0                  ; DW_AT_producer
	.short	2                               ; DW_AT_language
	.long	.Linfo_string1                  ; DW_AT_name
	.long	.Lline_table_start0             ; DW_AT_stmt_list
	.long	.Linfo_string2                  ; DW_AT_comp_dir
	.quad	.Lfunc_begin0                   ; DW_AT_low_pc
	.long	.Lfunc_end0-.Lfunc_begin0       ; DW_AT_high_pc
	.byte	2                               ; Abbrev [2] 0x2a:0x6 DW_TAG_subprogram
	.long	.Linfo_string3                  ; DW_AT_name
	.byte	1                               ; DW_AT_inline
	.byte	3                               ; Abbrev [3] 0x30:0x2c DW_TAG_subprogram
	.quad	.Lfunc_begin0                   ; DW_AT_low_pc
	.long	.Lfunc_end0-.Lfunc_begin0       ; DW_AT_high_pc
	.long	42                              ; DW_AT_abstract_origin
	.byte	4                               ; Abbrev [4] 0x41:0x1a DW_TAG_inlined_subroutine
	.long	42                              ; DW_AT_abstract_origin
	.long	.Ldebug_ranges0                 ; DW_AT_ranges
	.byte	1                               ; DW_AT_call_file
	.byte	18                              ; DW_AT_call_line
	.byte	25                              ; DW_AT_call_column
	.byte	5                               ; Abbrev [5] 0x4d:0xd DW_TAG_inlined_subroutine
	.long	42                              ; DW_AT_abstract_origin
	.long	.Ldebug_ranges1                 ; DW_AT_ranges
	.byte	2                               ; DW_AT_call_file
	.short	293                             ; DW_AT_call_line
	.byte	36                              ; DW_AT_call_column
	.byte	0                               ; End Of Children Mark
	.byte	0                               ; End Of Children Mark
	;; [unrolled: 1-line block ×3, first 2 shown]
.Ldebug_info_end0:
	.section	.debug_ranges,"",@progbits
.Ldebug_ranges0:
	.quad	.Ltmp2-.Lfunc_begin0
	.quad	.Ltmp8-.Lfunc_begin0
	;; [unrolled: 1-line block ×6, first 2 shown]
	.quad	0
	.quad	0
.Ldebug_ranges1:
	.quad	.Ltmp2-.Lfunc_begin0
	.quad	.Ltmp3-.Lfunc_begin0
	;; [unrolled: 1-line block ×8, first 2 shown]
	.quad	0
	.quad	0
	.section	.debug_str,"MS",@progbits,1
.Linfo_string0:
	.asciz	"triton"                        ; string offset=0
.Linfo_string1:
	.asciz	"dot_aot.py"                    ; string offset=7
.Linfo_string2:
	.asciz	"/root/src/amdgpu-assembly/repos/FlagOpen__FlagGems/triton_aot_kernels" ; string offset=18
.Linfo_string3:
	.asciz	"dot_kernel_1"                  ; string offset=88
	.section	".note.GNU-stack","",@progbits
	.amdgpu_metadata
---
amdhsa.kernels:
  - .agpr_count:     0
    .args:
      - .address_space:  global
        .offset:         0
        .size:           8
        .value_kind:     global_buffer
      - .address_space:  global
        .offset:         8
        .size:           8
        .value_kind:     global_buffer
      - .address_space:  global
        .offset:         16
        .size:           8
        .value_kind:     global_buffer
      - .offset:         24
        .size:           4
        .value_kind:     by_value
      - .address_space:  global
        .offset:         32
        .size:           8
        .value_kind:     global_buffer
      - .address_space:  global
        .offset:         40
        .size:           8
        .value_kind:     global_buffer
    .group_segment_fixed_size: 0
    .kernarg_segment_align: 8
    .kernarg_segment_size: 48
    .max_flat_workgroup_size: 256
    .name:           dot_kernel_1
    .private_segment_fixed_size: 0
    .sgpr_count:     22
    .sgpr_spill_count: 0
    .symbol:         dot_kernel_1.kd
    .uniform_work_group_size: 1
    .uses_dynamic_stack: false
    .vgpr_count:     12
    .vgpr_spill_count: 0
    .wavefront_size: 64
amdhsa.target:   amdgcn-amd-amdhsa--gfx950
amdhsa.version:
  - 1
  - 2
...

	.end_amdgpu_metadata
	.section	.debug_line,"",@progbits
.Lline_table_start0:
